;; amdgpu-corpus repo=ROCm/rocFFT kind=compiled arch=gfx906 opt=O3
	.text
	.amdgcn_target "amdgcn-amd-amdhsa--gfx906"
	.amdhsa_code_object_version 6
	.protected	fft_rtc_fwd_len960_factors_16_10_6_wgs_160_tpt_160_dp_op_CI_CI_unitstride_sbrr_dirReg ; -- Begin function fft_rtc_fwd_len960_factors_16_10_6_wgs_160_tpt_160_dp_op_CI_CI_unitstride_sbrr_dirReg
	.globl	fft_rtc_fwd_len960_factors_16_10_6_wgs_160_tpt_160_dp_op_CI_CI_unitstride_sbrr_dirReg
	.p2align	8
	.type	fft_rtc_fwd_len960_factors_16_10_6_wgs_160_tpt_160_dp_op_CI_CI_unitstride_sbrr_dirReg,@function
fft_rtc_fwd_len960_factors_16_10_6_wgs_160_tpt_160_dp_op_CI_CI_unitstride_sbrr_dirReg: ; @fft_rtc_fwd_len960_factors_16_10_6_wgs_160_tpt_160_dp_op_CI_CI_unitstride_sbrr_dirReg
; %bb.0:
	s_load_dwordx4 s[8:11], s[4:5], 0x58
	s_load_dwordx4 s[12:15], s[4:5], 0x0
	;; [unrolled: 1-line block ×3, first 2 shown]
	v_mul_u32_u24_e32 v1, 0x19a, v0
	v_add_u32_sdwa v5, s6, v1 dst_sel:DWORD dst_unused:UNUSED_PAD src0_sel:DWORD src1_sel:WORD_1
	v_mov_b32_e32 v3, 0
	s_waitcnt lgkmcnt(0)
	v_cmp_lt_u64_e64 s[0:1], s[14:15], 2
	v_mov_b32_e32 v1, 0
	v_mov_b32_e32 v6, v3
	s_and_b64 vcc, exec, s[0:1]
	v_mov_b32_e32 v2, 0
	s_cbranch_vccnz .LBB0_8
; %bb.1:
	s_load_dwordx2 s[0:1], s[4:5], 0x10
	s_add_u32 s2, s18, 8
	s_addc_u32 s3, s19, 0
	s_add_u32 s6, s16, 8
	v_mov_b32_e32 v1, 0
	s_addc_u32 s7, s17, 0
	v_mov_b32_e32 v2, 0
	s_waitcnt lgkmcnt(0)
	s_add_u32 s20, s0, 8
	v_mov_b32_e32 v65, v2
	s_addc_u32 s21, s1, 0
	s_mov_b64 s[22:23], 1
	v_mov_b32_e32 v64, v1
.LBB0_2:                                ; =>This Inner Loop Header: Depth=1
	s_load_dwordx2 s[24:25], s[20:21], 0x0
                                        ; implicit-def: $vgpr66_vgpr67
	s_waitcnt lgkmcnt(0)
	v_or_b32_e32 v4, s25, v6
	v_cmp_ne_u64_e32 vcc, 0, v[3:4]
	s_and_saveexec_b64 s[0:1], vcc
	s_xor_b64 s[26:27], exec, s[0:1]
	s_cbranch_execz .LBB0_4
; %bb.3:                                ;   in Loop: Header=BB0_2 Depth=1
	v_cvt_f32_u32_e32 v4, s24
	v_cvt_f32_u32_e32 v7, s25
	s_sub_u32 s0, 0, s24
	s_subb_u32 s1, 0, s25
	v_mac_f32_e32 v4, 0x4f800000, v7
	v_rcp_f32_e32 v4, v4
	v_mul_f32_e32 v4, 0x5f7ffffc, v4
	v_mul_f32_e32 v7, 0x2f800000, v4
	v_trunc_f32_e32 v7, v7
	v_mac_f32_e32 v4, 0xcf800000, v7
	v_cvt_u32_f32_e32 v7, v7
	v_cvt_u32_f32_e32 v4, v4
	v_mul_lo_u32 v8, s0, v7
	v_mul_hi_u32 v9, s0, v4
	v_mul_lo_u32 v11, s1, v4
	v_mul_lo_u32 v10, s0, v4
	v_add_u32_e32 v8, v9, v8
	v_add_u32_e32 v8, v8, v11
	v_mul_hi_u32 v9, v4, v10
	v_mul_lo_u32 v11, v4, v8
	v_mul_hi_u32 v13, v4, v8
	v_mul_hi_u32 v12, v7, v10
	v_mul_lo_u32 v10, v7, v10
	v_mul_hi_u32 v14, v7, v8
	v_add_co_u32_e32 v9, vcc, v9, v11
	v_addc_co_u32_e32 v11, vcc, 0, v13, vcc
	v_mul_lo_u32 v8, v7, v8
	v_add_co_u32_e32 v9, vcc, v9, v10
	v_addc_co_u32_e32 v9, vcc, v11, v12, vcc
	v_addc_co_u32_e32 v10, vcc, 0, v14, vcc
	v_add_co_u32_e32 v8, vcc, v9, v8
	v_addc_co_u32_e32 v9, vcc, 0, v10, vcc
	v_add_co_u32_e32 v4, vcc, v4, v8
	v_addc_co_u32_e32 v7, vcc, v7, v9, vcc
	v_mul_lo_u32 v8, s0, v7
	v_mul_hi_u32 v9, s0, v4
	v_mul_lo_u32 v10, s1, v4
	v_mul_lo_u32 v11, s0, v4
	v_add_u32_e32 v8, v9, v8
	v_add_u32_e32 v8, v8, v10
	v_mul_lo_u32 v12, v4, v8
	v_mul_hi_u32 v13, v4, v11
	v_mul_hi_u32 v14, v4, v8
	v_mul_hi_u32 v10, v7, v11
	v_mul_lo_u32 v11, v7, v11
	v_mul_hi_u32 v9, v7, v8
	v_add_co_u32_e32 v12, vcc, v13, v12
	v_addc_co_u32_e32 v13, vcc, 0, v14, vcc
	v_mul_lo_u32 v8, v7, v8
	v_add_co_u32_e32 v11, vcc, v12, v11
	v_addc_co_u32_e32 v10, vcc, v13, v10, vcc
	v_addc_co_u32_e32 v9, vcc, 0, v9, vcc
	v_add_co_u32_e32 v8, vcc, v10, v8
	v_addc_co_u32_e32 v9, vcc, 0, v9, vcc
	v_add_co_u32_e32 v4, vcc, v4, v8
	v_addc_co_u32_e32 v9, vcc, v7, v9, vcc
	v_mad_u64_u32 v[7:8], s[0:1], v5, v9, 0
	v_mul_hi_u32 v10, v5, v4
	v_add_co_u32_e32 v11, vcc, v10, v7
	v_addc_co_u32_e32 v12, vcc, 0, v8, vcc
	v_mad_u64_u32 v[7:8], s[0:1], v6, v4, 0
	v_mad_u64_u32 v[9:10], s[0:1], v6, v9, 0
	v_add_co_u32_e32 v4, vcc, v11, v7
	v_addc_co_u32_e32 v4, vcc, v12, v8, vcc
	v_addc_co_u32_e32 v7, vcc, 0, v10, vcc
	v_add_co_u32_e32 v4, vcc, v4, v9
	v_addc_co_u32_e32 v9, vcc, 0, v7, vcc
	v_mul_lo_u32 v10, s25, v4
	v_mul_lo_u32 v11, s24, v9
	v_mad_u64_u32 v[7:8], s[0:1], s24, v4, 0
	v_add3_u32 v8, v8, v11, v10
	v_sub_u32_e32 v10, v6, v8
	v_mov_b32_e32 v11, s25
	v_sub_co_u32_e32 v7, vcc, v5, v7
	v_subb_co_u32_e64 v10, s[0:1], v10, v11, vcc
	v_subrev_co_u32_e64 v11, s[0:1], s24, v7
	v_subbrev_co_u32_e64 v10, s[0:1], 0, v10, s[0:1]
	v_cmp_le_u32_e64 s[0:1], s25, v10
	v_cndmask_b32_e64 v12, 0, -1, s[0:1]
	v_cmp_le_u32_e64 s[0:1], s24, v11
	v_cndmask_b32_e64 v11, 0, -1, s[0:1]
	v_cmp_eq_u32_e64 s[0:1], s25, v10
	v_cndmask_b32_e64 v10, v12, v11, s[0:1]
	v_add_co_u32_e64 v11, s[0:1], 2, v4
	v_addc_co_u32_e64 v12, s[0:1], 0, v9, s[0:1]
	v_add_co_u32_e64 v13, s[0:1], 1, v4
	v_addc_co_u32_e64 v14, s[0:1], 0, v9, s[0:1]
	v_subb_co_u32_e32 v8, vcc, v6, v8, vcc
	v_cmp_ne_u32_e64 s[0:1], 0, v10
	v_cmp_le_u32_e32 vcc, s25, v8
	v_cndmask_b32_e64 v10, v14, v12, s[0:1]
	v_cndmask_b32_e64 v12, 0, -1, vcc
	v_cmp_le_u32_e32 vcc, s24, v7
	v_cndmask_b32_e64 v7, 0, -1, vcc
	v_cmp_eq_u32_e32 vcc, s25, v8
	v_cndmask_b32_e32 v7, v12, v7, vcc
	v_cmp_ne_u32_e32 vcc, 0, v7
	v_cndmask_b32_e64 v7, v13, v11, s[0:1]
	v_cndmask_b32_e32 v67, v9, v10, vcc
	v_cndmask_b32_e32 v66, v4, v7, vcc
.LBB0_4:                                ;   in Loop: Header=BB0_2 Depth=1
	s_andn2_saveexec_b64 s[0:1], s[26:27]
	s_cbranch_execz .LBB0_6
; %bb.5:                                ;   in Loop: Header=BB0_2 Depth=1
	v_cvt_f32_u32_e32 v4, s24
	s_sub_i32 s26, 0, s24
	v_mov_b32_e32 v67, v3
	v_rcp_iflag_f32_e32 v4, v4
	v_mul_f32_e32 v4, 0x4f7ffffe, v4
	v_cvt_u32_f32_e32 v4, v4
	v_mul_lo_u32 v7, s26, v4
	v_mul_hi_u32 v7, v4, v7
	v_add_u32_e32 v4, v4, v7
	v_mul_hi_u32 v4, v5, v4
	v_mul_lo_u32 v7, v4, s24
	v_add_u32_e32 v8, 1, v4
	v_sub_u32_e32 v7, v5, v7
	v_subrev_u32_e32 v9, s24, v7
	v_cmp_le_u32_e32 vcc, s24, v7
	v_cndmask_b32_e32 v7, v7, v9, vcc
	v_cndmask_b32_e32 v4, v4, v8, vcc
	v_add_u32_e32 v8, 1, v4
	v_cmp_le_u32_e32 vcc, s24, v7
	v_cndmask_b32_e32 v66, v4, v8, vcc
.LBB0_6:                                ;   in Loop: Header=BB0_2 Depth=1
	s_or_b64 exec, exec, s[0:1]
	v_mul_lo_u32 v4, v67, s24
	v_mul_lo_u32 v9, v66, s25
	v_mad_u64_u32 v[7:8], s[0:1], v66, s24, 0
	s_load_dwordx2 s[0:1], s[6:7], 0x0
	s_load_dwordx2 s[24:25], s[2:3], 0x0
	v_add3_u32 v4, v8, v9, v4
	v_sub_co_u32_e32 v5, vcc, v5, v7
	v_subb_co_u32_e32 v4, vcc, v6, v4, vcc
	s_waitcnt lgkmcnt(0)
	v_mul_lo_u32 v6, s0, v4
	v_mul_lo_u32 v7, s1, v5
	v_mad_u64_u32 v[1:2], s[0:1], s0, v5, v[1:2]
	v_mul_lo_u32 v4, s24, v4
	v_mul_lo_u32 v8, s25, v5
	v_mad_u64_u32 v[64:65], s[0:1], s24, v5, v[64:65]
	s_add_u32 s22, s22, 1
	s_addc_u32 s23, s23, 0
	s_add_u32 s2, s2, 8
	v_add3_u32 v65, v8, v65, v4
	s_addc_u32 s3, s3, 0
	v_mov_b32_e32 v4, s14
	s_add_u32 s6, s6, 8
	v_mov_b32_e32 v5, s15
	s_addc_u32 s7, s7, 0
	v_cmp_ge_u64_e32 vcc, s[22:23], v[4:5]
	s_add_u32 s20, s20, 8
	v_add3_u32 v2, v7, v2, v6
	s_addc_u32 s21, s21, 0
	s_cbranch_vccnz .LBB0_9
; %bb.7:                                ;   in Loop: Header=BB0_2 Depth=1
	v_mov_b32_e32 v5, v66
	v_mov_b32_e32 v6, v67
	s_branch .LBB0_2
.LBB0_8:
	v_mov_b32_e32 v65, v2
	v_mov_b32_e32 v67, v6
	;; [unrolled: 1-line block ×4, first 2 shown]
.LBB0_9:
	s_load_dwordx2 s[4:5], s[4:5], 0x28
	s_lshl_b64 s[6:7], s[14:15], 3
	s_add_u32 s2, s18, s6
	s_addc_u32 s3, s19, s7
                                        ; implicit-def: $vgpr68
	s_waitcnt lgkmcnt(0)
	v_cmp_gt_u64_e64 s[0:1], s[4:5], v[66:67]
	v_cmp_le_u64_e32 vcc, s[4:5], v[66:67]
	s_and_saveexec_b64 s[4:5], vcc
	s_xor_b64 s[4:5], exec, s[4:5]
; %bb.10:
	s_mov_b32 s14, 0x199999a
	v_mul_hi_u32 v1, v0, s14
	v_mul_u32_u24_e32 v1, 0xa0, v1
	v_sub_u32_e32 v68, v0, v1
                                        ; implicit-def: $vgpr0
                                        ; implicit-def: $vgpr1_vgpr2
; %bb.11:
	s_andn2_saveexec_b64 s[4:5], s[4:5]
	s_cbranch_execz .LBB0_13
; %bb.12:
	s_add_u32 s6, s16, s6
	s_addc_u32 s7, s17, s7
	s_load_dwordx2 s[6:7], s[6:7], 0x0
	s_mov_b32 s14, 0x199999a
	v_mul_hi_u32 v5, v0, s14
	s_waitcnt lgkmcnt(0)
	v_mul_lo_u32 v6, s7, v66
	v_mul_lo_u32 v7, s6, v67
	v_mad_u64_u32 v[3:4], s[6:7], s6, v66, 0
	v_mul_u32_u24_e32 v5, 0xa0, v5
	v_sub_u32_e32 v68, v0, v5
	v_add3_u32 v4, v4, v7, v6
	v_lshlrev_b64 v[3:4], 4, v[3:4]
	v_mov_b32_e32 v0, s9
	v_add_co_u32_e32 v3, vcc, s8, v3
	v_addc_co_u32_e32 v4, vcc, v0, v4, vcc
	v_lshlrev_b64 v[0:1], 4, v[1:2]
	v_lshlrev_b32_e32 v28, 4, v68
	v_add_co_u32_e32 v0, vcc, v3, v0
	v_addc_co_u32_e32 v1, vcc, v4, v1, vcc
	v_add_co_u32_e32 v16, vcc, v0, v28
	v_addc_co_u32_e32 v17, vcc, 0, v1, vcc
	s_movk_i32 s6, 0x1000
	v_add_co_u32_e32 v18, vcc, s6, v16
	v_addc_co_u32_e32 v19, vcc, 0, v17, vcc
	v_add_co_u32_e32 v24, vcc, 0x2000, v16
	v_addc_co_u32_e32 v25, vcc, 0, v17, vcc
	v_add_co_u32_e32 v26, vcc, 0x3000, v16
	global_load_dwordx4 v[0:3], v[16:17], off
	global_load_dwordx4 v[4:7], v[16:17], off offset:2560
	global_load_dwordx4 v[8:11], v[18:19], off offset:1024
	;; [unrolled: 1-line block ×3, first 2 shown]
	v_addc_co_u32_e32 v27, vcc, 0, v17, vcc
	global_load_dwordx4 v[16:19], v[24:25], off offset:2048
	global_load_dwordx4 v[20:23], v[26:27], off offset:512
	v_add_u32_e32 v24, 0, v28
	s_waitcnt vmcnt(5)
	ds_write_b128 v24, v[0:3]
	s_waitcnt vmcnt(4)
	ds_write_b128 v24, v[4:7] offset:2560
	s_waitcnt vmcnt(3)
	ds_write_b128 v24, v[8:11] offset:5120
	s_waitcnt vmcnt(2)
	ds_write_b128 v24, v[12:15] offset:7680
	s_waitcnt vmcnt(1)
	ds_write_b128 v24, v[16:19] offset:10240
	s_waitcnt vmcnt(0)
	ds_write_b128 v24, v[20:23] offset:12800
.LBB0_13:
	s_or_b64 exec, exec, s[4:5]
	v_lshl_add_u32 v69, v68, 4, 0
	s_waitcnt lgkmcnt(0)
	s_barrier
	ds_read_b128 v[0:3], v69
	ds_read_b128 v[4:7], v69 offset:960
	ds_read_b128 v[8:11], v69 offset:1920
	ds_read_b128 v[12:15], v69 offset:2880
	ds_read_b128 v[16:19], v69 offset:3840
	ds_read_b128 v[20:23], v69 offset:4800
	ds_read_b128 v[24:27], v69 offset:5760
	ds_read_b128 v[28:31], v69 offset:6720
	ds_read_b128 v[32:35], v69 offset:7680
	ds_read_b128 v[36:39], v69 offset:8640
	ds_read_b128 v[40:43], v69 offset:9600
	ds_read_b128 v[44:47], v69 offset:10560
	ds_read_b128 v[48:51], v69 offset:11520
	ds_read_b128 v[52:55], v69 offset:12480
	ds_read_b128 v[56:59], v69 offset:13440
	ds_read_b128 v[60:63], v69 offset:14400
	s_waitcnt lgkmcnt(7)
	v_add_f64 v[34:35], v[2:3], -v[34:35]
	s_waitcnt lgkmcnt(3)
	v_add_f64 v[50:51], v[18:19], -v[50:51]
	v_add_f64 v[42:43], v[10:11], -v[42:43]
	s_waitcnt lgkmcnt(1)
	v_add_f64 v[58:59], v[26:27], -v[58:59]
	v_add_f64 v[32:33], v[0:1], -v[32:33]
	;; [unrolled: 1-line block ×5, first 2 shown]
	v_fma_f64 v[2:3], v[2:3], 2.0, -v[34:35]
	v_fma_f64 v[18:19], v[18:19], 2.0, -v[50:51]
	;; [unrolled: 1-line block ×4, first 2 shown]
	v_add_f64 v[36:37], v[4:5], -v[36:37]
	v_add_f64 v[54:55], v[22:23], -v[54:55]
	;; [unrolled: 1-line block ×3, first 2 shown]
	s_waitcnt lgkmcnt(0)
	v_add_f64 v[62:63], v[30:31], -v[62:63]
	v_fma_f64 v[0:1], v[0:1], 2.0, -v[32:33]
	v_fma_f64 v[16:17], v[16:17], 2.0, -v[48:49]
	;; [unrolled: 1-line block ×4, first 2 shown]
	v_add_f64 v[38:39], v[6:7], -v[38:39]
	v_add_f64 v[52:53], v[20:21], -v[52:53]
	;; [unrolled: 1-line block ×4, first 2 shown]
	v_fma_f64 v[22:23], v[22:23], 2.0, -v[54:55]
	v_fma_f64 v[30:31], v[30:31], 2.0, -v[62:63]
	v_add_f64 v[18:19], v[2:3], -v[18:19]
	v_add_f64 v[50:51], v[32:33], -v[50:51]
	v_add_f64 v[48:49], v[34:35], v[48:49]
	v_add_f64 v[26:27], v[10:11], -v[26:27]
	v_add_f64 v[58:59], v[40:41], -v[58:59]
	v_add_f64 v[56:57], v[42:43], v[56:57]
	v_add_f64 v[54:55], v[36:37], -v[54:55]
	v_add_f64 v[62:63], v[44:45], -v[62:63]
	v_fma_f64 v[4:5], v[4:5], 2.0, -v[36:37]
	v_fma_f64 v[20:21], v[20:21], 2.0, -v[52:53]
	;; [unrolled: 1-line block ×4, first 2 shown]
	v_add_f64 v[16:17], v[0:1], -v[16:17]
	v_add_f64 v[24:25], v[8:9], -v[24:25]
	v_fma_f64 v[2:3], v[2:3], 2.0, -v[18:19]
	v_fma_f64 v[32:33], v[32:33], 2.0, -v[50:51]
	;; [unrolled: 1-line block ×6, first 2 shown]
	v_add_f64 v[52:53], v[38:39], v[52:53]
	v_add_f64 v[60:61], v[46:47], v[60:61]
	v_fma_f64 v[36:37], v[36:37], 2.0, -v[54:55]
	v_fma_f64 v[44:45], v[44:45], 2.0, -v[62:63]
	s_mov_b32 s4, 0x667f3bcd
	s_mov_b32 s5, 0xbfe6a09e
	;; [unrolled: 1-line block ×4, first 2 shown]
	v_fma_f64 v[6:7], v[6:7], 2.0, -v[38:39]
	v_fma_f64 v[14:15], v[14:15], 2.0, -v[46:47]
	;; [unrolled: 1-line block ×4, first 2 shown]
	v_add_f64 v[20:21], v[4:5], -v[20:21]
	v_add_f64 v[28:29], v[12:13], -v[28:29]
	v_fma_f64 v[38:39], v[38:39], 2.0, -v[52:53]
	v_fma_f64 v[46:47], v[46:47], 2.0, -v[60:61]
	v_fma_f64 v[70:71], v[40:41], s[4:5], v[32:33]
	v_fma_f64 v[72:73], v[42:43], s[4:5], v[34:35]
	v_add_f64 v[76:77], v[2:3], -v[10:11]
	v_fma_f64 v[10:11], v[56:57], s[6:7], v[48:49]
	v_add_f64 v[80:81], v[18:19], v[24:25]
	v_fma_f64 v[24:25], v[44:45], s[4:5], v[36:37]
	v_add_f64 v[22:23], v[6:7], -v[22:23]
	v_add_f64 v[30:31], v[14:15], -v[30:31]
	v_fma_f64 v[4:5], v[4:5], 2.0, -v[20:21]
	v_fma_f64 v[12:13], v[12:13], 2.0, -v[28:29]
	v_add_f64 v[74:75], v[0:1], -v[8:9]
	v_fma_f64 v[8:9], v[58:59], s[6:7], v[50:51]
	v_fma_f64 v[70:71], v[42:43], s[4:5], v[70:71]
	;; [unrolled: 1-line block ×3, first 2 shown]
	v_add_f64 v[78:79], v[16:17], -v[26:27]
	v_fma_f64 v[84:85], v[58:59], s[6:7], v[10:11]
	v_fma_f64 v[26:27], v[46:47], s[4:5], v[38:39]
	;; [unrolled: 1-line block ×5, first 2 shown]
	v_fma_f64 v[6:7], v[6:7], 2.0, -v[22:23]
	v_fma_f64 v[14:15], v[14:15], 2.0, -v[30:31]
	v_fma_f64 v[82:83], v[56:57], s[4:5], v[8:9]
	v_fma_f64 v[8:9], v[32:33], 2.0, -v[70:71]
	v_fma_f64 v[10:11], v[34:35], 2.0, -v[72:73]
	;; [unrolled: 1-line block ×3, first 2 shown]
	v_add_f64 v[48:49], v[4:5], -v[12:13]
	v_fma_f64 v[26:27], v[44:45], s[6:7], v[26:27]
	v_add_f64 v[30:31], v[20:21], -v[30:31]
	v_add_f64 v[28:29], v[22:23], v[28:29]
	v_fma_f64 v[86:87], v[60:61], s[4:5], v[40:41]
	v_fma_f64 v[88:89], v[62:63], s[6:7], v[42:43]
	v_fma_f64 v[12:13], v[36:37], 2.0, -v[24:25]
	s_mov_b32 s8, 0xcf328d46
	s_mov_b32 s9, 0xbfed906b
	v_fma_f64 v[16:17], v[16:17], 2.0, -v[78:79]
	v_fma_f64 v[18:19], v[18:19], 2.0, -v[80:81]
	;; [unrolled: 1-line block ×3, first 2 shown]
	v_add_f64 v[50:51], v[6:7], -v[14:15]
	v_fma_f64 v[14:15], v[38:39], 2.0, -v[26:27]
	v_fma_f64 v[36:37], v[20:21], 2.0, -v[30:31]
	;; [unrolled: 1-line block ×5, first 2 shown]
	v_fma_f64 v[20:21], v[12:13], s[8:9], v[8:9]
	s_mov_b32 s14, 0xa6aea964
	s_mov_b32 s15, 0xbfd87de2
	v_fma_f64 v[22:23], v[14:15], s[8:9], v[10:11]
	v_fma_f64 v[44:45], v[36:37], s[4:5], v[16:17]
	;; [unrolled: 1-line block ×4, first 2 shown]
	s_mov_b32 s19, 0x3fed906b
	v_fma_f64 v[20:21], v[14:15], s[14:15], v[20:21]
	v_fma_f64 v[14:15], v[40:41], s[14:15], v[34:35]
	s_mov_b32 s18, s8
	s_mov_b32 s17, 0x3fd87de2
	v_fma_f64 v[44:45], v[38:39], s[4:5], v[44:45]
	v_fma_f64 v[46:47], v[36:37], s[6:7], v[46:47]
	;; [unrolled: 1-line block ×3, first 2 shown]
	s_mov_b32 s16, s14
	v_fma_f64 v[0:1], v[0:1], 2.0, -v[74:75]
	v_fma_f64 v[42:43], v[42:43], s[18:19], v[14:15]
	v_fma_f64 v[2:3], v[2:3], 2.0, -v[76:77]
	v_fma_f64 v[4:5], v[4:5], 2.0, -v[48:49]
	;; [unrolled: 1-line block ×3, first 2 shown]
	v_fma_f64 v[22:23], v[12:13], s[16:17], v[22:23]
	v_fma_f64 v[12:13], v[16:17], 2.0, -v[44:45]
	v_fma_f64 v[14:15], v[18:19], 2.0, -v[46:47]
	;; [unrolled: 1-line block ×4, first 2 shown]
	v_fma_f64 v[32:33], v[24:25], s[16:17], v[70:71]
	v_fma_f64 v[34:35], v[26:27], s[16:17], v[72:73]
	;; [unrolled: 1-line block ×6, first 2 shown]
	v_add_f64 v[4:5], v[0:1], -v[4:5]
	v_add_f64 v[6:7], v[2:3], -v[6:7]
	;; [unrolled: 1-line block ×3, first 2 shown]
	v_add_f64 v[62:63], v[76:77], v[48:49]
	v_fma_f64 v[56:57], v[26:27], s[8:9], v[32:33]
	v_fma_f64 v[58:59], v[24:25], s[18:19], v[34:35]
	;; [unrolled: 1-line block ×6, first 2 shown]
	v_fma_f64 v[0:1], v[0:1], 2.0, -v[4:5]
	v_fma_f64 v[2:3], v[2:3], 2.0, -v[6:7]
	;; [unrolled: 1-line block ×12, first 2 shown]
	v_cmp_gt_u32_e32 vcc, 60, v68
	s_barrier
	s_and_saveexec_b64 s[4:5], vcc
	s_cbranch_execz .LBB0_15
; %bb.14:
	s_movk_i32 s6, 0xf0
	v_mad_u32_u24 v70, v68, s6, v69
	ds_write_b128 v70, v[0:3]
	ds_write_b128 v70, v[8:11] offset:16
	ds_write_b128 v70, v[12:15] offset:32
	;; [unrolled: 1-line block ×15, first 2 shown]
.LBB0_15:
	s_or_b64 exec, exec, s[4:5]
	s_movk_i32 s4, 0x60
	v_cmp_gt_u32_e32 vcc, s4, v68
	s_waitcnt lgkmcnt(0)
	s_barrier
	s_and_saveexec_b64 s[4:5], vcc
	s_cbranch_execz .LBB0_17
; %bb.16:
	ds_read_b128 v[0:3], v69
	ds_read_b128 v[8:11], v69 offset:1536
	ds_read_b128 v[12:15], v69 offset:3072
	;; [unrolled: 1-line block ×9, first 2 shown]
.LBB0_17:
	s_or_b64 exec, exec, s[4:5]
	s_waitcnt lgkmcnt(0)
	s_barrier
	s_and_saveexec_b64 s[4:5], vcc
	s_cbranch_execz .LBB0_19
; %bb.18:
	v_and_b32_e32 v40, 15, v68
	v_mul_u32_u24_e32 v41, 9, v40
	v_lshlrev_b32_e32 v61, 4, v41
	global_load_dwordx4 v[41:44], v61, s[12:13] offset:48
	global_load_dwordx4 v[45:48], v61, s[12:13] offset:80
	;; [unrolled: 1-line block ×8, first 2 shown]
	global_load_dwordx4 v[82:85], v61, s[12:13]
	s_mov_b32 s6, 0x134454ff
	s_mov_b32 s7, 0x3fee6f0e
	;; [unrolled: 1-line block ×12, first 2 shown]
	s_waitcnt vmcnt(8)
	v_mul_f64 v[61:62], v[28:29], v[43:44]
	s_waitcnt vmcnt(7)
	v_mul_f64 v[86:87], v[32:33], v[47:48]
	;; [unrolled: 2-line block ×8, first 2 shown]
	v_mul_f64 v[72:73], v[24:25], v[72:73]
	v_mul_f64 v[80:81], v[36:37], v[80:81]
	v_mul_f64 v[43:44], v[30:31], v[43:44]
	v_mul_f64 v[47:48], v[34:35], v[47:48]
	v_mul_f64 v[51:52], v[14:15], v[51:52]
	v_mul_f64 v[55:56], v[6:7], v[55:56]
	v_mul_f64 v[59:60], v[16:17], v[59:60]
	v_mul_f64 v[76:77], v[20:21], v[76:77]
	s_waitcnt vmcnt(0)
	v_mul_f64 v[100:101], v[10:11], v[84:85]
	v_mul_f64 v[84:85], v[8:9], v[84:85]
	v_fma_f64 v[30:31], v[30:31], v[41:42], v[61:62]
	v_fma_f64 v[34:35], v[34:35], v[45:46], v[86:87]
	;; [unrolled: 1-line block ×4, first 2 shown]
	v_fma_f64 v[16:17], v[16:17], v[57:58], -v[92:93]
	v_fma_f64 v[20:21], v[20:21], v[74:75], -v[96:97]
	;; [unrolled: 1-line block ×4, first 2 shown]
	v_fma_f64 v[26:27], v[26:27], v[70:71], v[72:73]
	v_fma_f64 v[38:39], v[38:39], v[78:79], v[80:81]
	v_fma_f64 v[28:29], v[28:29], v[41:42], -v[43:44]
	v_fma_f64 v[32:33], v[32:33], v[45:46], -v[47:48]
	;; [unrolled: 1-line block ×4, first 2 shown]
	v_fma_f64 v[18:19], v[18:19], v[57:58], v[59:60]
	v_fma_f64 v[22:23], v[22:23], v[74:75], v[76:77]
	v_fma_f64 v[8:9], v[8:9], v[82:83], -v[100:101]
	v_fma_f64 v[10:11], v[10:11], v[82:83], v[84:85]
	v_add_f64 v[41:42], v[14:15], -v[30:31]
	v_add_f64 v[43:44], v[6:7], -v[34:35]
	v_add_f64 v[47:48], v[30:31], v[34:35]
	v_add_f64 v[49:50], v[16:17], -v[24:25]
	v_add_f64 v[51:52], v[20:21], -v[36:37]
	v_add_f64 v[57:58], v[26:27], v[38:39]
	;; [unrolled: 3-line block ×3, first 2 shown]
	v_add_f64 v[82:83], v[2:3], v[14:15]
	v_add_f64 v[53:54], v[18:19], -v[26:27]
	v_add_f64 v[55:56], v[22:23], -v[38:39]
	;; [unrolled: 1-line block ×4, first 2 shown]
	v_add_f64 v[80:81], v[18:19], v[22:23]
	v_add_f64 v[84:85], v[10:11], v[18:19]
	v_add_f64 v[90:91], v[12:13], -v[4:5]
	v_add_f64 v[92:93], v[30:31], -v[34:35]
	;; [unrolled: 1-line block ×3, first 2 shown]
	v_add_f64 v[100:101], v[16:17], v[20:21]
	v_add_f64 v[102:103], v[24:25], v[36:37]
	;; [unrolled: 1-line block ×5, first 2 shown]
	v_fma_f64 v[57:58], v[57:58], -0.5, v[10:11]
	v_fma_f64 v[59:60], v[70:71], -0.5, v[2:3]
	v_add_f64 v[30:31], v[82:83], v[30:31]
	v_fma_f64 v[2:3], v[47:48], -0.5, v[2:3]
	v_add_f64 v[45:46], v[28:29], -v[32:33]
	v_add_f64 v[76:77], v[26:27], -v[18:19]
	;; [unrolled: 1-line block ×6, first 2 shown]
	v_add_f64 v[49:50], v[53:54], v[55:56]
	v_add_f64 v[53:54], v[72:73], v[74:75]
	v_fma_f64 v[10:11], v[80:81], -0.5, v[10:11]
	v_add_f64 v[26:27], v[84:85], v[26:27]
	v_fma_f64 v[61:62], v[100:101], -0.5, v[8:9]
	v_fma_f64 v[70:71], v[102:103], -0.5, v[8:9]
	v_add_f64 v[30:31], v[30:31], v[34:35]
	v_fma_f64 v[34:35], v[90:91], s[6:7], v[2:3]
	v_fma_f64 v[2:3], v[90:91], s[14:15], v[2:3]
	;; [unrolled: 1-line block ×3, first 2 shown]
	v_add_f64 v[55:56], v[76:77], v[78:79]
	v_fma_f64 v[72:73], v[45:46], s[14:15], v[59:60]
	v_fma_f64 v[59:60], v[45:46], s[6:7], v[59:60]
	v_add_f64 v[26:27], v[26:27], v[38:39]
	v_fma_f64 v[38:39], v[94:95], s[14:15], v[10:11]
	v_fma_f64 v[76:77], v[96:97], s[6:7], v[61:62]
	;; [unrolled: 1-line block ×15, first 2 shown]
	v_add_f64 v[14:15], v[14:15], -v[6:7]
	v_add_f64 v[74:75], v[30:31], v[6:7]
	v_add_f64 v[6:7], v[28:29], v[32:33]
	;; [unrolled: 1-line block ×3, first 2 shown]
	v_fma_f64 v[22:23], v[49:50], s[18:19], v[45:46]
	v_fma_f64 v[57:58], v[98:99], s[14:15], v[57:58]
	;; [unrolled: 1-line block ×6, first 2 shown]
	v_fma_f64 v[30:31], v[6:7], -0.5, v[0:1]
	v_fma_f64 v[6:7], v[43:44], s[18:19], v[61:62]
	v_fma_f64 v[51:52], v[51:52], s[18:19], v[59:60]
	v_mul_f64 v[59:60], v[22:23], s[20:21]
	v_fma_f64 v[18:19], v[53:54], s[18:19], v[18:19]
	v_add_f64 v[53:54], v[12:13], v[4:5]
	v_fma_f64 v[57:58], v[94:95], s[16:17], v[57:58]
	v_fma_f64 v[70:71], v[96:97], s[8:9], v[70:71]
	v_add_f64 v[86:87], v[12:13], -v[28:29]
	v_add_f64 v[88:89], v[4:5], -v[32:33]
	v_fma_f64 v[10:11], v[55:56], s[18:19], v[10:11]
	v_fma_f64 v[55:56], v[14:15], s[14:15], v[30:31]
	v_fma_f64 v[59:60], v[6:7], s[16:17], -v[59:60]
	v_mul_f64 v[6:7], v[6:7], s[20:21]
	v_fma_f64 v[53:54], v[53:54], -0.5, v[0:1]
	v_add_f64 v[0:1], v[0:1], v[12:13]
	v_add_f64 v[8:9], v[8:9], v[16:17]
	v_fma_f64 v[43:44], v[43:44], s[18:19], v[70:71]
	v_fma_f64 v[49:50], v[49:50], s[18:19], v[57:58]
	v_add_f64 v[57:58], v[28:29], -v[12:13]
	v_add_f64 v[70:71], v[32:33], -v[4:5]
	v_add_f64 v[47:48], v[86:87], v[88:89]
	v_fma_f64 v[72:73], v[22:23], s[8:9], -v[6:7]
	v_fma_f64 v[22:23], v[92:93], s[16:17], v[55:56]
	v_add_f64 v[0:1], v[0:1], v[28:29]
	v_add_f64 v[8:9], v[8:9], v[24:25]
	v_fma_f64 v[24:25], v[14:15], s[6:7], v[30:31]
	v_mul_f64 v[12:13], v[18:19], s[14:15]
	v_add_f64 v[55:56], v[57:58], v[70:71]
	v_fma_f64 v[57:58], v[92:93], s[6:7], v[53:54]
	v_fma_f64 v[53:54], v[92:93], s[14:15], v[53:54]
	v_mul_f64 v[16:17], v[43:44], s[16:17]
	v_fma_f64 v[76:77], v[47:48], s[18:19], v[22:23]
	v_add_f64 v[0:1], v[0:1], v[32:33]
	v_fma_f64 v[22:23], v[92:93], s[8:9], v[24:25]
	v_mul_f64 v[24:25], v[49:50], s[8:9]
	v_add_f64 v[8:9], v[8:9], v[36:37]
	v_fma_f64 v[28:29], v[10:11], s[18:19], v[12:13]
	v_fma_f64 v[12:13], v[14:15], s[16:17], v[57:58]
	;; [unrolled: 1-line block ×3, first 2 shown]
	v_mul_f64 v[10:11], v[10:11], s[6:7]
	v_mul_f64 v[61:62], v[26:27], s[18:19]
	v_fma_f64 v[70:71], v[49:50], s[20:21], v[16:17]
	v_mul_f64 v[16:17], v[38:39], s[18:19]
	v_fma_f64 v[24:25], v[43:44], s[20:21], v[24:25]
	v_add_f64 v[36:37], v[0:1], v[4:5]
	v_add_f64 v[43:44], v[8:9], v[20:21]
	v_fma_f64 v[34:35], v[41:42], s[18:19], v[34:35]
	v_fma_f64 v[41:42], v[41:42], s[18:19], v[2:3]
	;; [unrolled: 1-line block ×6, first 2 shown]
	v_fma_f64 v[61:62], v[38:39], s[14:15], -v[61:62]
	v_fma_f64 v[53:54], v[26:27], s[6:7], -v[16:17]
	v_add_f64 v[16:17], v[36:37], -v[43:44]
	v_add_f64 v[38:39], v[74:75], v[78:79]
	v_add_f64 v[36:37], v[36:37], v[43:44]
	v_add_f64 v[2:3], v[34:35], -v[59:60]
	v_add_f64 v[12:13], v[32:33], -v[24:25]
	v_add_f64 v[22:23], v[34:35], v[59:60]
	v_add_f64 v[34:35], v[41:42], v[70:71]
	;; [unrolled: 1-line block ×3, first 2 shown]
	v_add_f64 v[10:11], v[51:52], -v[28:29]
	v_add_f64 v[30:31], v[51:52], v[28:29]
	v_add_f64 v[28:29], v[55:56], v[57:58]
	;; [unrolled: 1-line block ×4, first 2 shown]
	v_add_f64 v[14:15], v[41:42], -v[70:71]
	v_add_f64 v[20:21], v[76:77], v[72:73]
	v_lshrrev_b32_e32 v41, 4, v68
	v_add_f64 v[18:19], v[74:75], -v[78:79]
	v_mul_u32_u24_e32 v41, 0xa0, v41
	v_or_b32_e32 v40, v41, v40
	v_add_f64 v[8:9], v[55:56], -v[57:58]
	v_lshl_add_u32 v40, v40, 4, 0
	v_add_f64 v[6:7], v[45:46], -v[61:62]
	v_add_f64 v[0:1], v[76:77], -v[72:73]
	;; [unrolled: 1-line block ×3, first 2 shown]
	ds_write_b128 v40, v[36:39]
	ds_write_b128 v40, v[32:35] offset:256
	ds_write_b128 v40, v[28:31] offset:512
	;; [unrolled: 1-line block ×9, first 2 shown]
.LBB0_19:
	s_or_b64 exec, exec, s[4:5]
	v_mul_u32_u24_e32 v0, 5, v68
	v_lshlrev_b32_e32 v20, 4, v0
	s_load_dwordx2 s[2:3], s[2:3], 0x0
	s_waitcnt lgkmcnt(0)
	s_barrier
	global_load_dwordx4 v[0:3], v20, s[12:13] offset:2304
	global_load_dwordx4 v[4:7], v20, s[12:13] offset:2320
	;; [unrolled: 1-line block ×5, first 2 shown]
	ds_read_b128 v[20:23], v69
	ds_read_b128 v[24:27], v69 offset:2560
	ds_read_b128 v[28:31], v69 offset:5120
	;; [unrolled: 1-line block ×5, first 2 shown]
	s_mov_b32 s4, 0xe8584caa
	s_mov_b32 s5, 0x3febb67a
	;; [unrolled: 1-line block ×4, first 2 shown]
	s_waitcnt vmcnt(0) lgkmcnt(0)
	s_barrier
	v_mul_f64 v[44:45], v[26:27], v[2:3]
	v_mul_f64 v[2:3], v[24:25], v[2:3]
	;; [unrolled: 1-line block ×10, first 2 shown]
	v_fma_f64 v[32:33], v[32:33], v[8:9], -v[48:49]
	v_fma_f64 v[8:9], v[34:35], v[8:9], v[10:11]
	v_fma_f64 v[10:11], v[42:43], v[12:13], v[50:51]
	v_fma_f64 v[12:13], v[40:41], v[12:13], -v[14:15]
	v_fma_f64 v[28:29], v[28:29], v[4:5], -v[46:47]
	v_fma_f64 v[4:5], v[30:31], v[4:5], v[6:7]
	v_fma_f64 v[6:7], v[36:37], v[16:17], -v[52:53]
	v_fma_f64 v[14:15], v[38:39], v[16:17], v[18:19]
	;; [unrolled: 2-line block ×3, first 2 shown]
	v_add_f64 v[2:3], v[8:9], v[10:11]
	v_add_f64 v[18:19], v[32:33], v[12:13]
	;; [unrolled: 1-line block ×3, first 2 shown]
	v_add_f64 v[36:37], v[8:9], -v[10:11]
	v_add_f64 v[26:27], v[28:29], v[6:7]
	v_add_f64 v[38:39], v[32:33], -v[12:13]
	v_add_f64 v[30:31], v[4:5], -v[14:15]
	v_add_f64 v[34:35], v[22:23], v[4:5]
	v_fma_f64 v[2:3], v[2:3], -0.5, v[0:1]
	v_fma_f64 v[18:19], v[18:19], -0.5, v[16:17]
	v_add_f64 v[4:5], v[4:5], v[14:15]
	v_add_f64 v[28:29], v[28:29], -v[6:7]
	v_add_f64 v[0:1], v[0:1], v[8:9]
	v_add_f64 v[6:7], v[24:25], v[6:7]
	v_fma_f64 v[8:9], v[26:27], -0.5, v[20:21]
	v_add_f64 v[16:17], v[16:17], v[32:33]
	v_fma_f64 v[20:21], v[38:39], s[6:7], v[2:3]
	v_fma_f64 v[24:25], v[36:37], s[6:7], v[18:19]
	;; [unrolled: 1-line block ×4, first 2 shown]
	v_fma_f64 v[4:5], v[4:5], -0.5, v[22:23]
	v_add_f64 v[10:11], v[0:1], v[10:11]
	v_add_f64 v[14:15], v[34:35], v[14:15]
	;; [unrolled: 1-line block ×3, first 2 shown]
	v_mul_f64 v[0:1], v[20:21], s[4:5]
	v_mul_f64 v[16:17], v[24:25], -0.5
	v_mul_f64 v[22:23], v[18:19], s[6:7]
	v_mul_f64 v[26:27], v[2:3], -0.5
	v_fma_f64 v[32:33], v[30:31], s[4:5], v[8:9]
	v_fma_f64 v[34:35], v[28:29], s[6:7], v[4:5]
	;; [unrolled: 1-line block ×4, first 2 shown]
	v_fma_f64 v[18:19], v[18:19], 0.5, v[0:1]
	v_fma_f64 v[36:37], v[2:3], s[4:5], v[16:17]
	v_fma_f64 v[22:23], v[20:21], 0.5, v[22:23]
	v_fma_f64 v[24:25], v[24:25], s[6:7], v[26:27]
	v_add_f64 v[0:1], v[6:7], v[12:13]
	v_add_f64 v[2:3], v[14:15], v[10:11]
	v_add_f64 v[4:5], v[6:7], -v[12:13]
	v_add_f64 v[6:7], v[14:15], -v[10:11]
	v_add_f64 v[8:9], v[32:33], v[18:19]
	v_add_f64 v[12:13], v[30:31], v[36:37]
	;; [unrolled: 1-line block ×4, first 2 shown]
	v_add_f64 v[16:17], v[32:33], -v[18:19]
	v_add_f64 v[18:19], v[34:35], -v[22:23]
	;; [unrolled: 1-line block ×4, first 2 shown]
	ds_write_b128 v69, v[0:3]
	ds_write_b128 v69, v[4:7] offset:7680
	ds_write_b128 v69, v[8:11] offset:2560
	;; [unrolled: 1-line block ×5, first 2 shown]
	s_waitcnt lgkmcnt(0)
	s_barrier
	s_and_saveexec_b64 s[4:5], s[0:1]
	s_cbranch_execz .LBB0_21
; %bb.20:
	v_mul_lo_u32 v0, s3, v66
	v_mul_lo_u32 v1, s2, v67
	v_mad_u64_u32 v[4:5], s[0:1], s2, v66, 0
	v_mov_b32_e32 v6, s11
	v_lshl_add_u32 v10, v68, 4, 0
	v_add3_u32 v5, v5, v1, v0
	v_lshlrev_b64 v[4:5], 4, v[4:5]
	v_mov_b32_e32 v69, 0
	v_add_co_u32_e32 v7, vcc, s10, v4
	v_addc_co_u32_e32 v6, vcc, v6, v5, vcc
	v_lshlrev_b64 v[4:5], 4, v[64:65]
	ds_read_b128 v[0:3], v10
	v_add_co_u32_e32 v11, vcc, v7, v4
	v_addc_co_u32_e32 v12, vcc, v6, v5, vcc
	v_lshlrev_b64 v[4:5], 4, v[68:69]
	v_add_co_u32_e32 v8, vcc, v11, v4
	v_addc_co_u32_e32 v9, vcc, v12, v5, vcc
	ds_read_b128 v[4:7], v10 offset:2560
	s_waitcnt lgkmcnt(1)
	global_store_dwordx4 v[8:9], v[0:3], off
	s_nop 0
	v_add_u32_e32 v0, 0xa0, v68
	v_mov_b32_e32 v1, v69
	v_lshlrev_b64 v[0:1], 4, v[0:1]
	v_add_co_u32_e32 v0, vcc, v11, v0
	v_addc_co_u32_e32 v1, vcc, v12, v1, vcc
	s_waitcnt lgkmcnt(0)
	global_store_dwordx4 v[0:1], v[4:7], off
	ds_read_b128 v[0:3], v10 offset:5120
	v_add_u32_e32 v4, 0x140, v68
	v_mov_b32_e32 v5, v69
	v_lshlrev_b64 v[4:5], 4, v[4:5]
	v_add_co_u32_e32 v8, vcc, v11, v4
	v_addc_co_u32_e32 v9, vcc, v12, v5, vcc
	ds_read_b128 v[4:7], v10 offset:7680
	s_waitcnt lgkmcnt(1)
	global_store_dwordx4 v[8:9], v[0:3], off
	s_nop 0
	v_add_u32_e32 v0, 0x1e0, v68
	v_mov_b32_e32 v1, v69
	v_lshlrev_b64 v[0:1], 4, v[0:1]
	v_add_co_u32_e32 v0, vcc, v11, v0
	v_addc_co_u32_e32 v1, vcc, v12, v1, vcc
	s_waitcnt lgkmcnt(0)
	global_store_dwordx4 v[0:1], v[4:7], off
	ds_read_b128 v[0:3], v10 offset:10240
	v_add_u32_e32 v4, 0x280, v68
	v_mov_b32_e32 v5, v69
	v_lshlrev_b64 v[4:5], 4, v[4:5]
	v_add_u32_e32 v68, 0x320, v68
	v_add_co_u32_e32 v8, vcc, v11, v4
	v_addc_co_u32_e32 v9, vcc, v12, v5, vcc
	ds_read_b128 v[4:7], v10 offset:12800
	s_waitcnt lgkmcnt(1)
	global_store_dwordx4 v[8:9], v[0:3], off
	s_nop 0
	v_lshlrev_b64 v[0:1], 4, v[68:69]
	v_add_co_u32_e32 v0, vcc, v11, v0
	v_addc_co_u32_e32 v1, vcc, v12, v1, vcc
	s_waitcnt lgkmcnt(0)
	global_store_dwordx4 v[0:1], v[4:7], off
.LBB0_21:
	s_endpgm
	.section	.rodata,"a",@progbits
	.p2align	6, 0x0
	.amdhsa_kernel fft_rtc_fwd_len960_factors_16_10_6_wgs_160_tpt_160_dp_op_CI_CI_unitstride_sbrr_dirReg
		.amdhsa_group_segment_fixed_size 0
		.amdhsa_private_segment_fixed_size 0
		.amdhsa_kernarg_size 104
		.amdhsa_user_sgpr_count 6
		.amdhsa_user_sgpr_private_segment_buffer 1
		.amdhsa_user_sgpr_dispatch_ptr 0
		.amdhsa_user_sgpr_queue_ptr 0
		.amdhsa_user_sgpr_kernarg_segment_ptr 1
		.amdhsa_user_sgpr_dispatch_id 0
		.amdhsa_user_sgpr_flat_scratch_init 0
		.amdhsa_user_sgpr_private_segment_size 0
		.amdhsa_uses_dynamic_stack 0
		.amdhsa_system_sgpr_private_segment_wavefront_offset 0
		.amdhsa_system_sgpr_workgroup_id_x 1
		.amdhsa_system_sgpr_workgroup_id_y 0
		.amdhsa_system_sgpr_workgroup_id_z 0
		.amdhsa_system_sgpr_workgroup_info 0
		.amdhsa_system_vgpr_workitem_id 0
		.amdhsa_next_free_vgpr 104
		.amdhsa_next_free_sgpr 28
		.amdhsa_reserve_vcc 1
		.amdhsa_reserve_flat_scratch 0
		.amdhsa_float_round_mode_32 0
		.amdhsa_float_round_mode_16_64 0
		.amdhsa_float_denorm_mode_32 3
		.amdhsa_float_denorm_mode_16_64 3
		.amdhsa_dx10_clamp 1
		.amdhsa_ieee_mode 1
		.amdhsa_fp16_overflow 0
		.amdhsa_exception_fp_ieee_invalid_op 0
		.amdhsa_exception_fp_denorm_src 0
		.amdhsa_exception_fp_ieee_div_zero 0
		.amdhsa_exception_fp_ieee_overflow 0
		.amdhsa_exception_fp_ieee_underflow 0
		.amdhsa_exception_fp_ieee_inexact 0
		.amdhsa_exception_int_div_zero 0
	.end_amdhsa_kernel
	.text
.Lfunc_end0:
	.size	fft_rtc_fwd_len960_factors_16_10_6_wgs_160_tpt_160_dp_op_CI_CI_unitstride_sbrr_dirReg, .Lfunc_end0-fft_rtc_fwd_len960_factors_16_10_6_wgs_160_tpt_160_dp_op_CI_CI_unitstride_sbrr_dirReg
                                        ; -- End function
	.section	.AMDGPU.csdata,"",@progbits
; Kernel info:
; codeLenInByte = 6080
; NumSgprs: 32
; NumVgprs: 104
; ScratchSize: 0
; MemoryBound: 0
; FloatMode: 240
; IeeeMode: 1
; LDSByteSize: 0 bytes/workgroup (compile time only)
; SGPRBlocks: 3
; VGPRBlocks: 25
; NumSGPRsForWavesPerEU: 32
; NumVGPRsForWavesPerEU: 104
; Occupancy: 2
; WaveLimiterHint : 1
; COMPUTE_PGM_RSRC2:SCRATCH_EN: 0
; COMPUTE_PGM_RSRC2:USER_SGPR: 6
; COMPUTE_PGM_RSRC2:TRAP_HANDLER: 0
; COMPUTE_PGM_RSRC2:TGID_X_EN: 1
; COMPUTE_PGM_RSRC2:TGID_Y_EN: 0
; COMPUTE_PGM_RSRC2:TGID_Z_EN: 0
; COMPUTE_PGM_RSRC2:TIDIG_COMP_CNT: 0
	.type	__hip_cuid_8047c9aff5e8d290,@object ; @__hip_cuid_8047c9aff5e8d290
	.section	.bss,"aw",@nobits
	.globl	__hip_cuid_8047c9aff5e8d290
__hip_cuid_8047c9aff5e8d290:
	.byte	0                               ; 0x0
	.size	__hip_cuid_8047c9aff5e8d290, 1

	.ident	"AMD clang version 19.0.0git (https://github.com/RadeonOpenCompute/llvm-project roc-6.4.0 25133 c7fe45cf4b819c5991fe208aaa96edf142730f1d)"
	.section	".note.GNU-stack","",@progbits
	.addrsig
	.addrsig_sym __hip_cuid_8047c9aff5e8d290
	.amdgpu_metadata
---
amdhsa.kernels:
  - .args:
      - .actual_access:  read_only
        .address_space:  global
        .offset:         0
        .size:           8
        .value_kind:     global_buffer
      - .offset:         8
        .size:           8
        .value_kind:     by_value
      - .actual_access:  read_only
        .address_space:  global
        .offset:         16
        .size:           8
        .value_kind:     global_buffer
      - .actual_access:  read_only
        .address_space:  global
        .offset:         24
        .size:           8
        .value_kind:     global_buffer
      - .actual_access:  read_only
        .address_space:  global
        .offset:         32
        .size:           8
        .value_kind:     global_buffer
      - .offset:         40
        .size:           8
        .value_kind:     by_value
      - .actual_access:  read_only
        .address_space:  global
        .offset:         48
        .size:           8
        .value_kind:     global_buffer
      - .actual_access:  read_only
        .address_space:  global
        .offset:         56
        .size:           8
        .value_kind:     global_buffer
      - .offset:         64
        .size:           4
        .value_kind:     by_value
      - .actual_access:  read_only
        .address_space:  global
        .offset:         72
        .size:           8
        .value_kind:     global_buffer
      - .actual_access:  read_only
        .address_space:  global
        .offset:         80
        .size:           8
        .value_kind:     global_buffer
      - .actual_access:  read_only
        .address_space:  global
        .offset:         88
        .size:           8
        .value_kind:     global_buffer
      - .actual_access:  write_only
        .address_space:  global
        .offset:         96
        .size:           8
        .value_kind:     global_buffer
    .group_segment_fixed_size: 0
    .kernarg_segment_align: 8
    .kernarg_segment_size: 104
    .language:       OpenCL C
    .language_version:
      - 2
      - 0
    .max_flat_workgroup_size: 160
    .name:           fft_rtc_fwd_len960_factors_16_10_6_wgs_160_tpt_160_dp_op_CI_CI_unitstride_sbrr_dirReg
    .private_segment_fixed_size: 0
    .sgpr_count:     32
    .sgpr_spill_count: 0
    .symbol:         fft_rtc_fwd_len960_factors_16_10_6_wgs_160_tpt_160_dp_op_CI_CI_unitstride_sbrr_dirReg.kd
    .uniform_work_group_size: 1
    .uses_dynamic_stack: false
    .vgpr_count:     104
    .vgpr_spill_count: 0
    .wavefront_size: 64
amdhsa.target:   amdgcn-amd-amdhsa--gfx906
amdhsa.version:
  - 1
  - 2
...

	.end_amdgpu_metadata
